;; amdgpu-corpus repo=ROCm/rocFFT kind=compiled arch=gfx1201 opt=O3
	.text
	.amdgcn_target "amdgcn-amd-amdhsa--gfx1201"
	.amdhsa_code_object_version 6
	.protected	bluestein_single_fwd_len162_dim1_sp_op_CI_CI ; -- Begin function bluestein_single_fwd_len162_dim1_sp_op_CI_CI
	.globl	bluestein_single_fwd_len162_dim1_sp_op_CI_CI
	.p2align	8
	.type	bluestein_single_fwd_len162_dim1_sp_op_CI_CI,@function
bluestein_single_fwd_len162_dim1_sp_op_CI_CI: ; @bluestein_single_fwd_len162_dim1_sp_op_CI_CI
; %bb.0:
	s_load_b128 s[12:15], s[0:1], 0x28
	v_mul_u32_u24_e32 v1, 0x97c, v0
	s_mov_b32 s2, exec_lo
	s_delay_alu instid0(VALU_DEP_1) | instskip(NEXT) | instid1(VALU_DEP_1)
	v_lshrrev_b32_e32 v1, 16, v1
	v_mad_co_u64_u32 v[24:25], null, ttmp9, 9, v[1:2]
	v_mov_b32_e32 v25, 0
	s_wait_kmcnt 0x0
	s_delay_alu instid0(VALU_DEP_1)
	v_cmpx_gt_u64_e64 s[12:13], v[24:25]
	s_cbranch_execz .LBB0_2
; %bb.1:
	s_clause 0x1
	s_load_b128 s[4:7], s[0:1], 0x18
	s_load_b128 s[8:11], s[0:1], 0x0
	v_mul_lo_u16 v1, v1, 27
	v_mul_hi_u32 v12, 0x38e38e39, v24
	s_load_b64 s[0:1], s[0:1], 0x38
	s_delay_alu instid0(VALU_DEP_2) | instskip(NEXT) | instid1(VALU_DEP_2)
	v_sub_nc_u16 v16, v0, v1
	v_lshrrev_b32_e32 v12, 1, v12
	s_delay_alu instid0(VALU_DEP_2) | instskip(NEXT) | instid1(VALU_DEP_2)
	v_and_b32_e32 v37, 0xffff, v16
	v_lshl_add_u32 v12, v12, 3, v12
	s_delay_alu instid0(VALU_DEP_2) | instskip(SKIP_2) | instid1(VALU_DEP_2)
	v_lshlrev_b32_e32 v39, 3, v37
	s_wait_kmcnt 0x0
	s_load_b128 s[16:19], s[4:5], 0x0
	v_sub_nc_u32_e32 v12, v24, v12
	s_clause 0x3
	global_load_b64 v[25:26], v39, s[8:9]
	global_load_b64 v[27:28], v39, s[8:9] offset:216
	global_load_b64 v[29:30], v39, s[8:9] offset:432
	;; [unrolled: 1-line block ×3, first 2 shown]
	v_mul_u32_u24_e32 v12, 0xa2, v12
	s_delay_alu instid0(VALU_DEP_1) | instskip(NEXT) | instid1(VALU_DEP_1)
	v_lshlrev_b32_e32 v49, 3, v12
	v_add_nc_u32_e32 v38, v39, v49
	s_wait_kmcnt 0x0
	v_mad_co_u64_u32 v[0:1], null, s18, v24, 0
	v_mad_co_u64_u32 v[2:3], null, s16, v37, 0
	s_mul_u64 s[2:3], s[16:17], 0xd8
	s_delay_alu instid0(VALU_DEP_1) | instskip(NEXT) | instid1(VALU_DEP_1)
	v_mad_co_u64_u32 v[4:5], null, s19, v24, v[1:2]
	v_mad_co_u64_u32 v[5:6], null, s17, v37, v[3:4]
	v_mov_b32_e32 v1, v4
	s_delay_alu instid0(VALU_DEP_1) | instskip(NEXT) | instid1(VALU_DEP_3)
	v_lshlrev_b64_e32 v[0:1], 3, v[0:1]
	v_mov_b32_e32 v3, v5
	s_delay_alu instid0(VALU_DEP_2) | instskip(NEXT) | instid1(VALU_DEP_2)
	v_add_co_u32 v0, vcc_lo, s14, v0
	v_lshlrev_b64_e32 v[2:3], 3, v[2:3]
	s_delay_alu instid0(VALU_DEP_4) | instskip(NEXT) | instid1(VALU_DEP_2)
	v_add_co_ci_u32_e32 v1, vcc_lo, s15, v1, vcc_lo
	v_add_co_u32 v0, vcc_lo, v0, v2
	s_wait_alu 0xfffd
	s_delay_alu instid0(VALU_DEP_2) | instskip(NEXT) | instid1(VALU_DEP_2)
	v_add_co_ci_u32_e32 v1, vcc_lo, v1, v3, vcc_lo
	v_add_co_u32 v2, vcc_lo, v0, s2
	s_wait_alu 0xfffd
	s_delay_alu instid0(VALU_DEP_2) | instskip(SKIP_4) | instid1(VALU_DEP_2)
	v_add_co_ci_u32_e32 v3, vcc_lo, s3, v1, vcc_lo
	global_load_b64 v[0:1], v[0:1], off
	v_add_co_u32 v4, vcc_lo, v2, s2
	s_wait_alu 0xfffd
	v_add_co_ci_u32_e32 v5, vcc_lo, s3, v3, vcc_lo
	v_add_co_u32 v6, vcc_lo, v4, s2
	s_wait_alu 0xfffd
	s_delay_alu instid0(VALU_DEP_2)
	v_add_co_ci_u32_e32 v7, vcc_lo, s3, v5, vcc_lo
	s_clause 0x1
	global_load_b64 v[2:3], v[2:3], off
	global_load_b64 v[4:5], v[4:5], off
	v_add_co_u32 v8, vcc_lo, v6, s2
	s_wait_alu 0xfffd
	v_add_co_ci_u32_e32 v9, vcc_lo, s3, v7, vcc_lo
	global_load_b64 v[6:7], v[6:7], off
	v_add_co_u32 v10, vcc_lo, v8, s2
	s_wait_alu 0xfffd
	v_add_co_ci_u32_e32 v11, vcc_lo, s3, v9, vcc_lo
	v_cmp_gt_u16_e32 vcc_lo, 18, v16
	s_wait_loadcnt 0x3
	v_dual_mul_f32 v12, v1, v26 :: v_dual_and_b32 v13, 0xff, v16
	v_add_co_u32 v43, null, v37, 27
	s_delay_alu instid0(VALU_DEP_2) | instskip(NEXT) | instid1(VALU_DEP_3)
	v_fmac_f32_e32 v12, v0, v25
	v_mul_lo_u16 v13, 0xab, v13
	s_delay_alu instid0(VALU_DEP_3) | instskip(SKIP_2) | instid1(VALU_DEP_3)
	v_and_b32_e32 v18, 0xff, v43
	s_wait_loadcnt 0x1
	v_mul_f32_e32 v14, v5, v30
	v_lshrrev_b16 v17, 10, v13
	v_dual_mul_f32 v13, v0, v26 :: v_dual_mul_f32 v0, v3, v28
	global_load_b64 v[8:9], v[8:9], off
	s_clause 0x1
	global_load_b64 v[33:34], v39, s[8:9] offset:864
	global_load_b64 v[35:36], v39, s[8:9] offset:1080
	global_load_b64 v[10:11], v[10:11], off
	v_mul_f32_e32 v15, v4, v30
	v_fmac_f32_e32 v14, v4, v29
	v_mul_lo_u16 v20, 0xab, v18
	v_fmac_f32_e32 v0, v2, v27
	v_fma_f32 v13, v1, v25, -v13
	v_mul_f32_e32 v1, v2, v28
	s_wait_loadcnt 0x4
	v_mul_f32_e32 v2, v7, v32
	v_fma_f32 v15, v5, v29, -v15
	s_load_b128 s[4:7], s[6:7], 0x0
	v_mul_lo_u16 v19, v17, 6
	v_fma_f32 v1, v3, v27, -v1
	v_mul_f32_e32 v3, v6, v32
	v_fmac_f32_e32 v2, v6, v31
	v_lshrrev_b16 v20, 10, v20
	v_sub_nc_u16 v19, v16, v19
	s_wait_loadcnt 0x2
	v_mul_f32_e32 v5, v8, v34
	v_mul_f32_e32 v4, v9, v34
	s_wait_loadcnt 0x0
	v_mul_f32_e32 v6, v11, v36
	v_mul_f32_e32 v21, v10, v36
	v_fma_f32 v3, v7, v31, -v3
	v_fma_f32 v5, v9, v33, -v5
	v_fmac_f32_e32 v4, v8, v33
	v_fmac_f32_e32 v6, v10, v35
	v_fma_f32 v7, v11, v35, -v21
	ds_store_2addr_b64 v38, v[12:13], v[0:1] offset1:27
	ds_store_2addr_b64 v38, v[14:15], v[2:3] offset0:54 offset1:81
	ds_store_2addr_b64 v38, v[4:5], v[6:7] offset0:108 offset1:135
	global_wb scope:SCOPE_SE
	s_wait_dscnt 0x0
	s_wait_kmcnt 0x0
	s_barrier_signal -1
	s_barrier_wait -1
	global_inv scope:SCOPE_SE
	ds_load_2addr_b64 v[0:3], v38 offset1:27
	ds_load_2addr_b64 v[4:7], v38 offset0:54 offset1:81
	ds_load_2addr_b64 v[8:11], v38 offset0:108 offset1:135
	v_mul_lo_u16 v12, v20, 6
	v_mul_lo_u16 v13, v16, 6
	v_lshlrev_b16 v14, 1, v19
	v_mad_u16 v19, v17, 18, v19
	global_wb scope:SCOPE_SE
	s_wait_dscnt 0x0
	v_sub_nc_u16 v12, v43, v12
	v_and_b32_e32 v13, 0xffff, v13
	v_and_b32_e32 v14, 0xfe, v14
	s_barrier_signal -1
	s_barrier_wait -1
	v_and_b32_e32 v23, 0xff, v12
	v_lshl_add_u32 v40, v13, 3, v49
	global_inv scope:SCOPE_SE
	v_and_b32_e32 v19, 0xff, v19
	v_dual_add_f32 v22, v1, v5 :: v_dual_lshlrev_b32 v13, 4, v23
	v_add_f32_e32 v41, v2, v6
	v_dual_add_f32 v15, v4, v8 :: v_dual_lshlrev_b32 v12, 3, v14
	v_dual_sub_f32 v21, v5, v9 :: v_dual_add_f32 v14, v0, v4
	v_dual_add_f32 v5, v5, v9 :: v_dual_sub_f32 v4, v4, v8
	v_dual_add_f32 v42, v6, v10 :: v_dual_add_f32 v45, v3, v7
	v_dual_sub_f32 v44, v7, v11 :: v_dual_add_f32 v9, v22, v9
	v_dual_add_f32 v7, v7, v11 :: v_dual_sub_f32 v6, v6, v10
	v_add_f32_e32 v8, v14, v8
	v_fma_f32 v14, -0.5, v15, v0
	v_fma_f32 v15, -0.5, v5, v1
	v_add_f32_e32 v5, v41, v10
	v_fma_f32 v2, -0.5, v42, v2
	v_fmac_f32_e32 v3, -0.5, v7
	v_add_f32_e32 v10, v45, v11
	s_delay_alu instid0(VALU_DEP_4) | instskip(SKIP_4) | instid1(VALU_DEP_3)
	v_dual_fmamk_f32 v11, v21, 0x3f5db3d7, v14 :: v_dual_add_f32 v0, v8, v5
	v_dual_fmac_f32 v14, 0xbf5db3d7, v21 :: v_dual_fmamk_f32 v21, v4, 0xbf5db3d7, v15
	v_dual_fmac_f32 v15, 0x3f5db3d7, v4 :: v_dual_fmamk_f32 v4, v44, 0x3f5db3d7, v2
	v_dual_fmamk_f32 v7, v6, 0xbf5db3d7, v3 :: v_dual_fmac_f32 v2, 0xbf5db3d7, v44
	v_fmac_f32_e32 v3, 0x3f5db3d7, v6
	v_dual_add_f32 v1, v9, v10 :: v_dual_mul_f32 v42, 0xbf5db3d7, v4
	s_delay_alu instid0(VALU_DEP_3) | instskip(NEXT) | instid1(VALU_DEP_3)
	v_dual_mul_f32 v22, 0x3f5db3d7, v7 :: v_dual_mul_f32 v41, -0.5, v2
	v_mul_f32_e32 v44, -0.5, v3
	v_sub_f32_e32 v6, v8, v5
	s_delay_alu instid0(VALU_DEP_3) | instskip(NEXT) | instid1(VALU_DEP_3)
	v_dual_fmac_f32 v22, 0.5, v4 :: v_dual_fmac_f32 v41, 0x3f5db3d7, v3
	v_fmac_f32_e32 v44, 0xbf5db3d7, v2
	v_dual_fmac_f32 v42, 0.5, v7 :: v_dual_sub_f32 v7, v9, v10
	s_delay_alu instid0(VALU_DEP_3) | instskip(SKIP_1) | instid1(VALU_DEP_4)
	v_add_f32_e32 v2, v11, v22
	v_sub_f32_e32 v8, v11, v22
	v_dual_add_f32 v5, v15, v44 :: v_dual_add_f32 v4, v14, v41
	s_delay_alu instid0(VALU_DEP_4)
	v_dual_add_f32 v3, v21, v42 :: v_dual_sub_f32 v10, v14, v41
	v_sub_f32_e32 v9, v21, v42
	v_sub_f32_e32 v11, v15, v44
	ds_store_b128 v40, v[0:3]
	ds_store_b128 v40, v[4:7] offset:16
	ds_store_b128 v40, v[8:11] offset:32
	global_wb scope:SCOPE_SE
	s_wait_dscnt 0x0
	s_barrier_signal -1
	s_barrier_wait -1
	global_inv scope:SCOPE_SE
	s_clause 0x1
	global_load_b128 v[4:7], v12, s[10:11]
	global_load_b128 v[0:3], v13, s[10:11]
	v_add_co_u32 v9, s2, 0xffffffee, v37
	v_mul_lo_u16 v8, v18, 57
	s_wait_alu 0xf1ff
	v_add_co_ci_u32_e64 v10, null, 0, -1, s2
	s_delay_alu instid0(VALU_DEP_3) | instskip(SKIP_2) | instid1(VALU_DEP_4)
	v_cndmask_b32_e32 v21, v9, v37, vcc_lo
	v_lshl_add_u32 v42, v19, 3, v49
	v_lshrrev_b16 v44, 10, v8
	v_cndmask_b32_e64 v22, v10, 0, vcc_lo
	ds_load_2addr_b64 v[8:11], v38 offset0:54 offset1:81
	v_and_b32_e32 v18, 0xffff, v20
	s_add_nc_u64 s[2:3], s[8:9], 0x510
	v_mul_lo_u16 v12, v44, 18
	s_delay_alu instid0(VALU_DEP_1)
	v_sub_nc_u16 v50, v43, v12
	ds_load_2addr_b64 v[12:15], v38 offset0:108 offset1:135
	s_wait_loadcnt_dscnt 0x101
	v_dual_mul_f32 v46, v9, v5 :: v_dual_and_b32 v41, 0xff, v50
	v_mul_f32_e32 v47, v8, v5
	v_mul_u32_u24_e32 v20, 18, v18
	v_lshlrev_b64_e32 v[17:18], 4, v[21:22]
	s_wait_dscnt 0x0
	v_dual_mul_f32 v48, v13, v7 :: v_dual_lshlrev_b32 v45, 4, v41
	s_wait_loadcnt 0x0
	v_dual_mul_f32 v53, v10, v1 :: v_dual_add_nc_u32 v20, v20, v23
	v_dual_mul_f32 v51, v12, v7 :: v_dual_mul_f32 v52, v11, v1
	v_add_co_u32 v22, vcc_lo, s10, v17
	s_wait_alu 0xfffd
	v_add_co_ci_u32_e32 v23, vcc_lo, s11, v18, vcc_lo
	v_lshl_add_u32 v41, v20, 3, v49
	ds_load_2addr_b64 v[17:20], v38 offset1:27
	v_dual_mul_f32 v54, v15, v3 :: v_dual_fmac_f32 v47, v9, v4
	v_fma_f32 v8, v8, v4, -v46
	v_fma_f32 v9, v12, v6, -v48
	;; [unrolled: 1-line block ×3, first 2 shown]
	v_mul_f32_e32 v55, v14, v3
	v_fma_f32 v12, v14, v2, -v54
	v_fmac_f32_e32 v51, v13, v6
	v_cmp_lt_u16_e32 vcc_lo, 17, v16
	global_wb scope:SCOPE_SE
	s_wait_dscnt 0x0
	s_barrier_signal -1
	v_add_f32_e32 v52, v10, v12
	v_sub_f32_e32 v57, v10, v12
	s_wait_alu 0xfffd
	v_cndmask_b32_e64 v16, 0, 54, vcc_lo
	s_barrier_wait -1
	global_inv scope:SCOPE_SE
	v_add_nc_u32_e32 v16, v21, v16
	v_add_f32_e32 v48, v19, v10
	v_fmac_f32_e32 v55, v15, v2
	v_dual_add_f32 v13, v8, v9 :: v_dual_add_f32 v14, v18, v47
	v_sub_f32_e32 v15, v47, v51
	v_add_f32_e32 v46, v47, v51
	v_add_f32_e32 v12, v48, v12
	s_delay_alu instid0(VALU_DEP_4) | instskip(SKIP_4) | instid1(VALU_DEP_3)
	v_fma_f32 v10, -0.5, v13, v17
	v_fmac_f32_e32 v53, v11, v0
	v_add_f32_e32 v11, v17, v8
	v_sub_f32_e32 v47, v8, v9
	v_fma_f32 v19, -0.5, v52, v19
	v_dual_add_f32 v8, v11, v9 :: v_dual_add_f32 v9, v14, v51
	v_fmamk_f32 v14, v15, 0x3f5db3d7, v10
	v_fmac_f32_e32 v10, 0xbf5db3d7, v15
	v_sub_f32_e32 v54, v53, v55
	v_dual_add_f32 v56, v20, v53 :: v_dual_add_f32 v53, v53, v55
	v_fma_f32 v11, -0.5, v46, v18
	s_delay_alu instid0(VALU_DEP_3) | instskip(NEXT) | instid1(VALU_DEP_3)
	v_fmamk_f32 v17, v54, 0x3f5db3d7, v19
	v_dual_fmac_f32 v19, 0xbf5db3d7, v54 :: v_dual_fmac_f32 v20, -0.5, v53
	s_delay_alu instid0(VALU_DEP_3)
	v_fmamk_f32 v15, v47, 0xbf5db3d7, v11
	v_fmac_f32_e32 v11, 0x3f5db3d7, v47
	v_add_f32_e32 v13, v56, v55
	v_lshlrev_b32_e32 v54, 4, v43
	v_fmamk_f32 v18, v57, 0xbf5db3d7, v20
	v_fmac_f32_e32 v20, 0x3f5db3d7, v57
	ds_store_2addr_b64 v42, v[8:9], v[14:15] offset1:6
	ds_store_b64 v42, v[10:11] offset:96
	ds_store_2addr_b64 v41, v[12:13], v[17:18] offset1:6
	ds_store_b64 v41, v[19:20] offset:96
	global_wb scope:SCOPE_SE
	s_wait_dscnt 0x0
	s_barrier_signal -1
	s_barrier_wait -1
	global_inv scope:SCOPE_SE
	s_clause 0x1
	global_load_b128 v[12:15], v[22:23], off offset:96
	global_load_b128 v[8:11], v45, s[10:11] offset:96
	ds_load_2addr_b64 v[17:20], v38 offset0:54 offset1:81
	ds_load_2addr_b64 v[45:48], v38 offset0:108 offset1:135
	v_mad_u16 v22, v44, 54, v50
	v_lshl_add_u32 v44, v16, 3, v49
	v_lshlrev_b32_e32 v53, 4, v37
	s_wait_loadcnt_dscnt 0x100
	s_delay_alu instid0(VALU_DEP_3) | instskip(NEXT) | instid1(VALU_DEP_1)
	v_dual_mul_f32 v22, v46, v15 :: v_dual_and_b32 v21, 0xff, v22
	v_lshl_add_u32 v43, v21, 3, v49
	ds_load_2addr_b64 v[49:52], v38 offset1:27
	v_dual_mul_f32 v16, v18, v13 :: v_dual_mul_f32 v23, v45, v15
	s_wait_loadcnt 0x0
	v_mul_f32_e32 v56, v19, v9
	v_dual_mul_f32 v21, v17, v13 :: v_dual_mul_f32 v58, v47, v11
	v_mul_f32_e32 v55, v20, v9
	v_fma_f32 v16, v17, v12, -v16
	v_fma_f32 v17, v45, v14, -v22
	v_fmac_f32_e32 v56, v20, v8
	v_dual_fmac_f32 v21, v18, v12 :: v_dual_fmac_f32 v58, v48, v10
	v_mul_f32_e32 v57, v48, v11
	s_delay_alu instid0(VALU_DEP_4)
	v_dual_fmac_f32 v23, v46, v14 :: v_dual_add_f32 v22, v16, v17
	v_fma_f32 v18, v19, v8, -v55
	global_wb scope:SCOPE_SE
	s_wait_dscnt 0x0
	s_barrier_signal -1
	s_barrier_wait -1
	global_inv scope:SCOPE_SE
	v_add_f32_e32 v46, v50, v21
	v_fma_f32 v20, v47, v10, -v57
	v_add_f32_e32 v19, v49, v16
	v_dual_sub_f32 v45, v21, v23 :: v_dual_add_f32 v48, v51, v18
	v_add_f32_e32 v59, v52, v56
	s_delay_alu instid0(VALU_DEP_4)
	v_sub_f32_e32 v60, v18, v20
	v_add_f32_e32 v55, v18, v20
	v_fma_f32 v18, -0.5, v22, v49
	v_sub_f32_e32 v57, v56, v58
	v_dual_add_f32 v56, v56, v58 :: v_dual_add_f32 v21, v21, v23
	v_sub_f32_e32 v47, v16, v17
	v_add_f32_e32 v16, v19, v17
	v_fmamk_f32 v22, v45, 0x3f5db3d7, v18
	s_delay_alu instid0(VALU_DEP_4) | instskip(SKIP_3) | instid1(VALU_DEP_3)
	v_fmac_f32_e32 v52, -0.5, v56
	v_fma_f32 v19, -0.5, v21, v50
	v_fma_f32 v51, -0.5, v55, v51
	v_dual_add_f32 v17, v46, v23 :: v_dual_add_f32 v20, v48, v20
	v_dual_fmac_f32 v18, 0xbf5db3d7, v45 :: v_dual_fmamk_f32 v23, v47, 0xbf5db3d7, v19
	v_fmac_f32_e32 v19, 0x3f5db3d7, v47
	v_dual_add_f32 v21, v59, v58 :: v_dual_fmamk_f32 v46, v60, 0xbf5db3d7, v52
	v_fmamk_f32 v45, v57, 0x3f5db3d7, v51
	v_fmac_f32_e32 v51, 0xbf5db3d7, v57
	v_fmac_f32_e32 v52, 0x3f5db3d7, v60
	ds_store_2addr_b64 v44, v[16:17], v[22:23] offset1:18
	ds_store_b64 v44, v[18:19] offset:288
	ds_store_2addr_b64 v43, v[20:21], v[45:46] offset1:18
	ds_store_b64 v43, v[51:52] offset:288
	global_wb scope:SCOPE_SE
	s_wait_dscnt 0x0
	s_barrier_signal -1
	s_barrier_wait -1
	global_inv scope:SCOPE_SE
	s_clause 0x1
	global_load_b128 v[20:23], v53, s[10:11] offset:384
	global_load_b128 v[16:19], v54, s[10:11] offset:384
	ds_load_2addr_b64 v[45:48], v38 offset0:54 offset1:81
	ds_load_2addr_b64 v[49:52], v38 offset0:108 offset1:135
	ds_load_2addr_b64 v[53:56], v38 offset1:27
	s_wait_loadcnt_dscnt 0x101
	v_dual_mul_f32 v60, v49, v23 :: v_dual_mul_f32 v57, v46, v21
	s_wait_loadcnt 0x0
	v_mul_f32_e32 v64, v51, v19
	v_mul_f32_e32 v58, v45, v21
	v_dual_mul_f32 v62, v47, v17 :: v_dual_mul_f32 v59, v50, v23
	v_dual_mul_f32 v61, v48, v17 :: v_dual_fmac_f32 v60, v50, v22
	v_fma_f32 v45, v45, v20, -v57
	s_delay_alu instid0(VALU_DEP_4) | instskip(NEXT) | instid1(VALU_DEP_4)
	v_dual_mul_f32 v63, v52, v19 :: v_dual_fmac_f32 v58, v46, v20
	v_fmac_f32_e32 v62, v48, v16
	v_fma_f32 v46, v49, v22, -v59
	s_wait_dscnt 0x0
	v_add_f32_e32 v48, v53, v45
	v_fma_f32 v47, v47, v16, -v61
	v_fma_f32 v49, v51, v18, -v63
	v_dual_fmac_f32 v64, v52, v18 :: v_dual_add_f32 v57, v58, v60
	s_delay_alu instid0(VALU_DEP_3) | instskip(NEXT) | instid1(VALU_DEP_3)
	v_dual_add_f32 v50, v45, v46 :: v_dual_add_f32 v59, v55, v47
	v_dual_sub_f32 v52, v58, v60 :: v_dual_add_f32 v61, v47, v49
	v_dual_add_f32 v51, v54, v58 :: v_dual_sub_f32 v66, v47, v49
	s_delay_alu instid0(VALU_DEP_4) | instskip(SKIP_1) | instid1(VALU_DEP_3)
	v_dual_sub_f32 v58, v45, v46 :: v_dual_sub_f32 v63, v62, v64
	v_dual_add_f32 v65, v56, v62 :: v_dual_add_f32 v62, v62, v64
	v_dual_add_f32 v45, v48, v46 :: v_dual_add_f32 v46, v51, v60
	v_fma_f32 v47, -0.5, v50, v53
	v_fma_f32 v48, -0.5, v57, v54
	;; [unrolled: 1-line block ×3, first 2 shown]
	v_dual_fmac_f32 v56, -0.5, v62 :: v_dual_add_f32 v49, v59, v49
	s_delay_alu instid0(VALU_DEP_4) | instskip(NEXT) | instid1(VALU_DEP_4)
	v_dual_add_f32 v50, v65, v64 :: v_dual_fmamk_f32 v51, v52, 0x3f5db3d7, v47
	v_dual_fmac_f32 v47, 0xbf5db3d7, v52 :: v_dual_fmamk_f32 v52, v58, 0xbf5db3d7, v48
	s_delay_alu instid0(VALU_DEP_4) | instskip(NEXT) | instid1(VALU_DEP_4)
	v_dual_fmac_f32 v48, 0x3f5db3d7, v58 :: v_dual_fmamk_f32 v53, v63, 0x3f5db3d7, v55
	v_dual_fmac_f32 v55, 0xbf5db3d7, v63 :: v_dual_fmamk_f32 v54, v66, 0xbf5db3d7, v56
	v_fmac_f32_e32 v56, 0x3f5db3d7, v66
	ds_store_b64 v38, v[51:52] offset:432
	ds_store_b64 v38, v[47:48] offset:864
	ds_store_2addr_b64 v38, v[45:46], v[49:50] offset1:27
	ds_store_b64 v38, v[53:54] offset:648
	ds_store_b64 v38, v[55:56] offset:1080
	global_wb scope:SCOPE_SE
	s_wait_dscnt 0x0
	s_barrier_signal -1
	s_barrier_wait -1
	global_inv scope:SCOPE_SE
	s_clause 0x5
	global_load_b64 v[57:58], v39, s[8:9] offset:1296
	global_load_b64 v[59:60], v39, s[2:3] offset:216
	;; [unrolled: 1-line block ×6, first 2 shown]
	ds_load_2addr_b64 v[45:48], v38 offset1:27
	ds_load_2addr_b64 v[49:52], v38 offset0:54 offset1:81
	ds_load_2addr_b64 v[53:56], v38 offset0:108 offset1:135
	s_mov_b32 s2, 0xfcd6e9e0
	s_mov_b32 s3, 0x3f7948b0
	s_wait_loadcnt_dscnt 0x402
	v_dual_mul_f32 v39, v46, v58 :: v_dual_mul_f32 v70, v48, v60
	v_dual_mul_f32 v69, v45, v58 :: v_dual_mul_f32 v58, v47, v60
	s_wait_loadcnt_dscnt 0x201
	v_dual_mul_f32 v71, v50, v62 :: v_dual_mul_f32 v72, v52, v64
	v_mul_f32_e32 v60, v49, v62
	s_wait_loadcnt_dscnt 0x100
	v_dual_mul_f32 v62, v51, v64 :: v_dual_mul_f32 v73, v54, v66
	v_mul_f32_e32 v64, v53, v66
	s_wait_loadcnt 0x0
	v_mul_f32_e32 v74, v56, v68
	v_mul_f32_e32 v66, v55, v68
	v_fma_f32 v68, v45, v57, -v39
	v_fmac_f32_e32 v69, v46, v57
	v_fma_f32 v57, v47, v59, -v70
	v_fmac_f32_e32 v58, v48, v59
	;; [unrolled: 2-line block ×6, first 2 shown]
	ds_store_2addr_b64 v38, v[68:69], v[57:58] offset1:27
	ds_store_2addr_b64 v38, v[59:60], v[61:62] offset0:54 offset1:81
	ds_store_2addr_b64 v38, v[63:64], v[65:66] offset0:108 offset1:135
	global_wb scope:SCOPE_SE
	s_wait_dscnt 0x0
	s_barrier_signal -1
	s_barrier_wait -1
	global_inv scope:SCOPE_SE
	ds_load_2addr_b64 v[45:48], v38 offset1:27
	ds_load_2addr_b64 v[49:52], v38 offset0:54 offset1:81
	ds_load_2addr_b64 v[53:56], v38 offset0:108 offset1:135
	global_wb scope:SCOPE_SE
	s_wait_dscnt 0x0
	s_barrier_signal -1
	s_barrier_wait -1
	global_inv scope:SCOPE_SE
	v_add_f32_e32 v39, v45, v49
	v_add_f32_e32 v57, v49, v53
	;; [unrolled: 1-line block ×3, first 2 shown]
	v_dual_sub_f32 v49, v49, v53 :: v_dual_sub_f32 v58, v50, v54
	v_add_f32_e32 v63, v48, v52
	s_delay_alu instid0(VALU_DEP_4)
	v_fma_f32 v57, -0.5, v57, v45
	v_add_f32_e32 v60, v47, v51
	v_sub_f32_e32 v62, v52, v56
	v_fma_f32 v47, -0.5, v61, v47
	v_dual_add_f32 v52, v52, v56 :: v_dual_sub_f32 v51, v51, v55
	v_add_f32_e32 v39, v39, v53
	s_delay_alu instid0(VALU_DEP_2) | instskip(NEXT) | instid1(VALU_DEP_1)
	v_dual_add_f32 v59, v46, v50 :: v_dual_fmac_f32 v48, -0.5, v52
	v_add_f32_e32 v53, v59, v54
	s_delay_alu instid0(VALU_DEP_2) | instskip(NEXT) | instid1(VALU_DEP_1)
	v_fmamk_f32 v52, v51, 0x3f5db3d7, v48
	v_dual_add_f32 v50, v50, v54 :: v_dual_mul_f32 v61, 0.5, v52
	s_delay_alu instid0(VALU_DEP_1) | instskip(SKIP_2) | instid1(VALU_DEP_3)
	v_fma_f32 v59, -0.5, v50, v46
	v_add_f32_e32 v50, v60, v55
	v_add_f32_e32 v54, v63, v56
	v_fmamk_f32 v56, v49, 0x3f5db3d7, v59
	v_fmac_f32_e32 v59, 0xbf5db3d7, v49
	v_fmamk_f32 v55, v58, 0xbf5db3d7, v57
	v_fmac_f32_e32 v57, 0x3f5db3d7, v58
	v_dual_fmamk_f32 v49, v62, 0xbf5db3d7, v47 :: v_dual_mul_f32 v58, 0xbf5db3d7, v52
	v_fmac_f32_e32 v47, 0x3f5db3d7, v62
	v_add_f32_e32 v45, v39, v50
	s_delay_alu instid0(VALU_DEP_3) | instskip(NEXT) | instid1(VALU_DEP_4)
	v_fmac_f32_e32 v61, 0x3f5db3d7, v49
	v_fmac_f32_e32 v58, 0.5, v49
	v_fmac_f32_e32 v48, 0xbf5db3d7, v51
	v_add_f32_e32 v46, v53, v54
	v_sub_f32_e32 v52, v53, v54
	v_sub_f32_e32 v51, v39, v50
	s_delay_alu instid0(VALU_DEP_4) | instskip(SKIP_3) | instid1(VALU_DEP_4)
	v_dual_sub_f32 v53, v55, v58 :: v_dual_mul_f32 v60, 0xbf5db3d7, v48
	v_mul_f32_e32 v62, -0.5, v48
	v_add_f32_e32 v48, v56, v61
	v_sub_f32_e32 v54, v56, v61
	v_fmac_f32_e32 v60, -0.5, v47
	s_delay_alu instid0(VALU_DEP_4) | instskip(NEXT) | instid1(VALU_DEP_1)
	v_dual_fmac_f32 v62, 0x3f5db3d7, v47 :: v_dual_add_f32 v47, v55, v58
	v_dual_add_f32 v49, v57, v60 :: v_dual_add_f32 v50, v59, v62
	v_dual_sub_f32 v55, v57, v60 :: v_dual_sub_f32 v56, v59, v62
	ds_store_b128 v40, v[45:48]
	ds_store_b128 v40, v[49:52] offset:16
	ds_store_b128 v40, v[53:56] offset:32
	global_wb scope:SCOPE_SE
	s_wait_dscnt 0x0
	s_barrier_signal -1
	s_barrier_wait -1
	global_inv scope:SCOPE_SE
	ds_load_2addr_b64 v[45:48], v38 offset0:54 offset1:81
	ds_load_2addr_b64 v[49:52], v38 offset0:108 offset1:135
	ds_load_2addr_b64 v[53:56], v38 offset1:27
	global_wb scope:SCOPE_SE
	s_wait_dscnt 0x0
	s_barrier_signal -1
	s_barrier_wait -1
	global_inv scope:SCOPE_SE
	v_mul_f32_e32 v39, v5, v46
	v_mul_f32_e32 v5, v5, v45
	v_mul_f32_e32 v57, v1, v48
	v_mul_f32_e32 v1, v1, v47
	s_delay_alu instid0(VALU_DEP_4) | instskip(NEXT) | instid1(VALU_DEP_4)
	v_fmac_f32_e32 v39, v4, v45
	v_fma_f32 v4, v4, v46, -v5
	v_mul_f32_e32 v40, v7, v50
	v_mul_f32_e32 v7, v7, v49
	v_fmac_f32_e32 v57, v0, v47
	v_fma_f32 v0, v0, v48, -v1
	v_mul_f32_e32 v58, v3, v52
	v_dual_mul_f32 v3, v3, v51 :: v_dual_fmac_f32 v40, v6, v49
	v_fma_f32 v5, v6, v50, -v7
	v_add_f32_e32 v1, v53, v39
	s_delay_alu instid0(VALU_DEP_3) | instskip(SKIP_1) | instid1(VALU_DEP_4)
	v_fma_f32 v6, v2, v52, -v3
	v_add_f32_e32 v3, v54, v4
	v_sub_f32_e32 v7, v4, v5
	v_add_f32_e32 v48, v56, v0
	s_delay_alu instid0(VALU_DEP_4) | instskip(SKIP_4) | instid1(VALU_DEP_4)
	v_sub_f32_e32 v47, v0, v6
	v_dual_add_f32 v49, v0, v6 :: v_dual_fmac_f32 v58, v2, v51
	v_dual_add_f32 v0, v1, v40 :: v_dual_add_f32 v1, v3, v5
	v_add_f32_e32 v2, v39, v40
	v_dual_sub_f32 v39, v39, v40 :: v_dual_add_f32 v4, v4, v5
	v_dual_add_f32 v45, v55, v57 :: v_dual_add_f32 v46, v57, v58
	v_add_f32_e32 v5, v48, v6
	s_delay_alu instid0(VALU_DEP_4) | instskip(NEXT) | instid1(VALU_DEP_4)
	v_fma_f32 v2, -0.5, v2, v53
	v_fma_f32 v3, -0.5, v4, v54
	v_sub_f32_e32 v50, v57, v58
	v_fma_f32 v55, -0.5, v46, v55
	v_fmac_f32_e32 v56, -0.5, v49
	v_fmamk_f32 v6, v7, 0xbf5db3d7, v2
	v_dual_fmac_f32 v2, 0x3f5db3d7, v7 :: v_dual_fmamk_f32 v7, v39, 0x3f5db3d7, v3
	v_dual_fmac_f32 v3, 0xbf5db3d7, v39 :: v_dual_add_f32 v4, v45, v58
	v_fmamk_f32 v39, v47, 0xbf5db3d7, v55
	v_dual_fmac_f32 v55, 0x3f5db3d7, v47 :: v_dual_fmamk_f32 v40, v50, 0x3f5db3d7, v56
	v_fmac_f32_e32 v56, 0xbf5db3d7, v50
	ds_store_2addr_b64 v42, v[0:1], v[6:7] offset1:6
	ds_store_b64 v42, v[2:3] offset:96
	ds_store_2addr_b64 v41, v[4:5], v[39:40] offset1:6
	ds_store_b64 v41, v[55:56] offset:96
	global_wb scope:SCOPE_SE
	s_wait_dscnt 0x0
	s_barrier_signal -1
	s_barrier_wait -1
	global_inv scope:SCOPE_SE
	ds_load_2addr_b64 v[0:3], v38 offset0:54 offset1:81
	ds_load_2addr_b64 v[4:7], v38 offset0:108 offset1:135
	ds_load_2addr_b64 v[39:42], v38 offset1:27
	global_wb scope:SCOPE_SE
	s_wait_dscnt 0x0
	s_barrier_signal -1
	s_barrier_wait -1
	global_inv scope:SCOPE_SE
	v_mul_f32_e32 v45, v13, v1
	v_dual_mul_f32 v13, v13, v0 :: v_dual_mul_f32 v46, v15, v5
	v_mul_f32_e32 v15, v15, v4
	v_mul_f32_e32 v47, v9, v3
	v_dual_mul_f32 v9, v9, v2 :: v_dual_mul_f32 v48, v11, v7
	s_delay_alu instid0(VALU_DEP_4)
	v_dual_mul_f32 v11, v11, v6 :: v_dual_fmac_f32 v46, v14, v4
	v_fmac_f32_e32 v45, v12, v0
	v_fma_f32 v0, v12, v1, -v13
	v_fma_f32 v1, v14, v5, -v15
	v_fmac_f32_e32 v47, v8, v2
	v_fma_f32 v2, v8, v3, -v9
	v_dual_fmac_f32 v48, v10, v6 :: v_dual_add_f32 v3, v39, v45
	v_fma_f32 v5, v10, v7, -v11
	v_dual_add_f32 v4, v45, v46 :: v_dual_sub_f32 v7, v0, v1
	s_delay_alu instid0(VALU_DEP_3) | instskip(SKIP_3) | instid1(VALU_DEP_3)
	v_dual_add_f32 v8, v0, v1 :: v_dual_add_f32 v11, v47, v48
	v_dual_add_f32 v6, v40, v0 :: v_dual_sub_f32 v9, v45, v46
	v_dual_add_f32 v10, v41, v47 :: v_dual_add_f32 v13, v42, v2
	v_dual_sub_f32 v12, v2, v5 :: v_dual_sub_f32 v15, v47, v48
	v_dual_add_f32 v0, v3, v46 :: v_dual_add_f32 v1, v6, v1
	v_fma_f32 v3, -0.5, v8, v40
	v_add_f32_e32 v14, v2, v5
	v_fma_f32 v2, -0.5, v4, v39
	v_fma_f32 v41, -0.5, v11, v41
	v_dual_add_f32 v4, v10, v48 :: v_dual_add_f32 v5, v13, v5
	s_delay_alu instid0(VALU_DEP_3) | instskip(SKIP_4) | instid1(VALU_DEP_3)
	v_fmamk_f32 v6, v7, 0xbf5db3d7, v2
	v_dual_fmac_f32 v2, 0x3f5db3d7, v7 :: v_dual_fmamk_f32 v7, v9, 0x3f5db3d7, v3
	v_dual_fmac_f32 v42, -0.5, v14 :: v_dual_fmac_f32 v3, 0xbf5db3d7, v9
	v_fmamk_f32 v8, v12, 0xbf5db3d7, v41
	v_fmac_f32_e32 v41, 0x3f5db3d7, v12
	v_fmamk_f32 v9, v15, 0x3f5db3d7, v42
	v_fmac_f32_e32 v42, 0xbf5db3d7, v15
	ds_store_2addr_b64 v44, v[0:1], v[6:7] offset1:18
	ds_store_b64 v44, v[2:3] offset:288
	ds_store_2addr_b64 v43, v[4:5], v[8:9] offset1:18
	ds_store_b64 v43, v[41:42] offset:288
	global_wb scope:SCOPE_SE
	s_wait_dscnt 0x0
	s_barrier_signal -1
	s_barrier_wait -1
	global_inv scope:SCOPE_SE
	ds_load_2addr_b64 v[0:3], v38 offset0:54 offset1:81
	ds_load_2addr_b64 v[4:7], v38 offset0:108 offset1:135
	ds_load_2addr_b64 v[8:11], v38 offset1:27
	s_wait_dscnt 0x2
	v_mul_f32_e32 v12, v21, v1
	s_wait_dscnt 0x1
	v_dual_mul_f32 v13, v21, v0 :: v_dual_mul_f32 v14, v23, v5
	v_mul_f32_e32 v21, v17, v3
	v_mul_f32_e32 v15, v23, v4
	;; [unrolled: 1-line block ×3, first 2 shown]
	v_dual_mul_f32 v23, v19, v7 :: v_dual_fmac_f32 v12, v20, v0
	v_dual_mul_f32 v19, v19, v6 :: v_dual_fmac_f32 v14, v22, v4
	v_fma_f32 v0, v20, v1, -v13
	v_fma_f32 v1, v22, v5, -v15
	v_fmac_f32_e32 v21, v16, v2
	v_fma_f32 v2, v16, v3, -v17
	v_fma_f32 v5, v18, v7, -v19
	s_delay_alu instid0(VALU_DEP_4)
	v_sub_f32_e32 v7, v0, v1
	s_wait_dscnt 0x0
	v_dual_fmac_f32 v23, v18, v6 :: v_dual_add_f32 v6, v9, v0
	v_dual_add_f32 v4, v12, v14 :: v_dual_add_f32 v15, v10, v21
	v_dual_sub_f32 v17, v2, v5 :: v_dual_add_f32 v18, v11, v2
	v_add_f32_e32 v19, v2, v5
	s_delay_alu instid0(VALU_DEP_3) | instskip(SKIP_2) | instid1(VALU_DEP_3)
	v_fma_f32 v2, -0.5, v4, v8
	v_add_f32_e32 v13, v0, v1
	v_add_f32_e32 v1, v6, v1
	v_dual_add_f32 v5, v18, v5 :: v_dual_fmamk_f32 v6, v7, 0xbf5db3d7, v2
	v_dual_fmac_f32 v2, 0x3f5db3d7, v7 :: v_dual_add_f32 v3, v8, v12
	v_add_f32_e32 v16, v21, v23
	v_sub_f32_e32 v12, v12, v14
	v_sub_f32_e32 v20, v21, v23
	v_add_f32_e32 v4, v15, v23
	v_add_f32_e32 v0, v3, v14
	v_fma_f32 v3, -0.5, v13, v9
	v_fma_f32 v10, -0.5, v16, v10
	v_fmac_f32_e32 v11, -0.5, v19
	s_delay_alu instid0(VALU_DEP_3) | instskip(NEXT) | instid1(VALU_DEP_3)
	v_fmamk_f32 v7, v12, 0x3f5db3d7, v3
	v_fmamk_f32 v8, v17, 0xbf5db3d7, v10
	s_delay_alu instid0(VALU_DEP_3)
	v_dual_fmac_f32 v10, 0x3f5db3d7, v17 :: v_dual_fmamk_f32 v9, v20, 0x3f5db3d7, v11
	v_fmac_f32_e32 v3, 0xbf5db3d7, v12
	v_fmac_f32_e32 v11, 0xbf5db3d7, v20
	ds_store_2addr_b64 v38, v[0:1], v[4:5] offset1:27
	ds_store_2addr_b64 v38, v[6:7], v[8:9] offset0:54 offset1:81
	ds_store_2addr_b64 v38, v[2:3], v[10:11] offset0:108 offset1:135
	global_wb scope:SCOPE_SE
	s_wait_dscnt 0x0
	s_barrier_signal -1
	s_barrier_wait -1
	global_inv scope:SCOPE_SE
	ds_load_2addr_b64 v[0:3], v38 offset1:27
	ds_load_2addr_b64 v[4:7], v38 offset0:54 offset1:81
	ds_load_2addr_b64 v[8:11], v38 offset0:108 offset1:135
	s_wait_dscnt 0x2
	v_mul_f32_e32 v14, v28, v3
	v_mul_f32_e32 v12, v26, v1
	s_wait_dscnt 0x1
	v_dual_mul_f32 v13, v26, v0 :: v_dual_mul_f32 v18, v32, v7
	s_wait_dscnt 0x0
	v_dual_mul_f32 v15, v28, v2 :: v_dual_mul_f32 v20, v34, v9
	v_mul_f32_e32 v16, v30, v5
	v_dual_mul_f32 v17, v30, v4 :: v_dual_mul_f32 v22, v36, v11
	v_dual_mul_f32 v19, v32, v6 :: v_dual_fmac_f32 v12, v25, v0
	v_dual_mul_f32 v21, v34, v8 :: v_dual_fmac_f32 v14, v27, v2
	s_delay_alu instid0(VALU_DEP_4)
	v_dual_mul_f32 v23, v36, v10 :: v_dual_fmac_f32 v16, v29, v4
	v_fma_f32 v13, v25, v1, -v13
	v_fma_f32 v15, v27, v3, -v15
	;; [unrolled: 1-line block ×3, first 2 shown]
	v_fmac_f32_e32 v18, v31, v6
	v_fma_f32 v19, v31, v7, -v19
	v_fmac_f32_e32 v20, v33, v8
	v_fma_f32 v21, v33, v9, -v21
	v_fmac_f32_e32 v22, v35, v10
	v_fma_f32 v23, v35, v11, -v23
	v_cvt_f64_f32_e32 v[0:1], v12
	v_cvt_f64_f32_e32 v[2:3], v13
	;; [unrolled: 1-line block ×12, first 2 shown]
	v_mad_co_u64_u32 v[25:26], null, s6, v24, 0
	v_mad_co_u64_u32 v[27:28], null, s4, v37, 0
	s_delay_alu instid0(VALU_DEP_1) | instskip(NEXT) | instid1(VALU_DEP_1)
	v_mad_co_u64_u32 v[29:30], null, s7, v24, v[26:27]
	v_mad_co_u64_u32 v[30:31], null, s5, v37, v[28:29]
	v_mov_b32_e32 v26, v29
	s_delay_alu instid0(VALU_DEP_1)
	v_lshlrev_b64_e32 v[24:25], 3, v[25:26]
	s_wait_alu 0xfffe
	v_mul_f64_e32 v[0:1], s[2:3], v[0:1]
	v_mul_f64_e32 v[2:3], s[2:3], v[2:3]
	v_mul_f64_e32 v[4:5], s[2:3], v[4:5]
	v_mul_f64_e32 v[6:7], s[2:3], v[6:7]
	v_mul_f64_e32 v[8:9], s[2:3], v[8:9]
	v_mul_f64_e32 v[10:11], s[2:3], v[10:11]
	v_mul_f64_e32 v[12:13], s[2:3], v[12:13]
	v_mul_f64_e32 v[14:15], s[2:3], v[14:15]
	v_mul_f64_e32 v[16:17], s[2:3], v[16:17]
	v_mul_f64_e32 v[18:19], s[2:3], v[18:19]
	v_mul_f64_e32 v[20:21], s[2:3], v[20:21]
	v_mul_f64_e32 v[22:23], s[2:3], v[22:23]
	v_mov_b32_e32 v28, v30
	s_delay_alu instid0(VALU_DEP_1)
	v_lshlrev_b64_e32 v[26:27], 3, v[27:28]
	v_cvt_f32_f64_e32 v0, v[0:1]
	v_cvt_f32_f64_e32 v1, v[2:3]
	;; [unrolled: 1-line block ×12, first 2 shown]
	v_add_co_u32 v12, vcc_lo, s0, v24
	s_wait_alu 0xfffd
	v_add_co_ci_u32_e32 v13, vcc_lo, s1, v25, vcc_lo
	s_mul_u64 s[0:1], s[4:5], 0xd8
	s_delay_alu instid0(VALU_DEP_2) | instskip(SKIP_1) | instid1(VALU_DEP_2)
	v_add_co_u32 v12, vcc_lo, v12, v26
	s_wait_alu 0xfffd
	v_add_co_ci_u32_e32 v13, vcc_lo, v13, v27, vcc_lo
	s_wait_alu 0xfffe
	s_delay_alu instid0(VALU_DEP_2) | instskip(SKIP_1) | instid1(VALU_DEP_2)
	v_add_co_u32 v14, vcc_lo, v12, s0
	s_wait_alu 0xfffd
	v_add_co_ci_u32_e32 v15, vcc_lo, s1, v13, vcc_lo
	s_delay_alu instid0(VALU_DEP_2) | instskip(SKIP_1) | instid1(VALU_DEP_2)
	v_add_co_u32 v16, vcc_lo, v14, s0
	s_wait_alu 0xfffd
	v_add_co_ci_u32_e32 v17, vcc_lo, s1, v15, vcc_lo
	s_delay_alu instid0(VALU_DEP_2) | instskip(SKIP_1) | instid1(VALU_DEP_2)
	v_add_co_u32 v18, vcc_lo, v16, s0
	s_wait_alu 0xfffd
	v_add_co_ci_u32_e32 v19, vcc_lo, s1, v17, vcc_lo
	s_delay_alu instid0(VALU_DEP_2) | instskip(SKIP_1) | instid1(VALU_DEP_2)
	v_add_co_u32 v20, vcc_lo, v18, s0
	s_wait_alu 0xfffd
	v_add_co_ci_u32_e32 v21, vcc_lo, s1, v19, vcc_lo
	s_delay_alu instid0(VALU_DEP_2) | instskip(SKIP_1) | instid1(VALU_DEP_2)
	v_add_co_u32 v22, vcc_lo, v20, s0
	s_wait_alu 0xfffd
	v_add_co_ci_u32_e32 v23, vcc_lo, s1, v21, vcc_lo
	s_clause 0x4
	global_store_b64 v[12:13], v[0:1], off
	global_store_b64 v[14:15], v[2:3], off
	;; [unrolled: 1-line block ×6, first 2 shown]
.LBB0_2:
	s_nop 0
	s_sendmsg sendmsg(MSG_DEALLOC_VGPRS)
	s_endpgm
	.section	.rodata,"a",@progbits
	.p2align	6, 0x0
	.amdhsa_kernel bluestein_single_fwd_len162_dim1_sp_op_CI_CI
		.amdhsa_group_segment_fixed_size 11664
		.amdhsa_private_segment_fixed_size 0
		.amdhsa_kernarg_size 104
		.amdhsa_user_sgpr_count 2
		.amdhsa_user_sgpr_dispatch_ptr 0
		.amdhsa_user_sgpr_queue_ptr 0
		.amdhsa_user_sgpr_kernarg_segment_ptr 1
		.amdhsa_user_sgpr_dispatch_id 0
		.amdhsa_user_sgpr_private_segment_size 0
		.amdhsa_wavefront_size32 1
		.amdhsa_uses_dynamic_stack 0
		.amdhsa_enable_private_segment 0
		.amdhsa_system_sgpr_workgroup_id_x 1
		.amdhsa_system_sgpr_workgroup_id_y 0
		.amdhsa_system_sgpr_workgroup_id_z 0
		.amdhsa_system_sgpr_workgroup_info 0
		.amdhsa_system_vgpr_workitem_id 0
		.amdhsa_next_free_vgpr 75
		.amdhsa_next_free_sgpr 20
		.amdhsa_reserve_vcc 1
		.amdhsa_float_round_mode_32 0
		.amdhsa_float_round_mode_16_64 0
		.amdhsa_float_denorm_mode_32 3
		.amdhsa_float_denorm_mode_16_64 3
		.amdhsa_fp16_overflow 0
		.amdhsa_workgroup_processor_mode 1
		.amdhsa_memory_ordered 1
		.amdhsa_forward_progress 0
		.amdhsa_round_robin_scheduling 0
		.amdhsa_exception_fp_ieee_invalid_op 0
		.amdhsa_exception_fp_denorm_src 0
		.amdhsa_exception_fp_ieee_div_zero 0
		.amdhsa_exception_fp_ieee_overflow 0
		.amdhsa_exception_fp_ieee_underflow 0
		.amdhsa_exception_fp_ieee_inexact 0
		.amdhsa_exception_int_div_zero 0
	.end_amdhsa_kernel
	.text
.Lfunc_end0:
	.size	bluestein_single_fwd_len162_dim1_sp_op_CI_CI, .Lfunc_end0-bluestein_single_fwd_len162_dim1_sp_op_CI_CI
                                        ; -- End function
	.section	.AMDGPU.csdata,"",@progbits
; Kernel info:
; codeLenInByte = 5132
; NumSgprs: 22
; NumVgprs: 75
; ScratchSize: 0
; MemoryBound: 0
; FloatMode: 240
; IeeeMode: 1
; LDSByteSize: 11664 bytes/workgroup (compile time only)
; SGPRBlocks: 2
; VGPRBlocks: 9
; NumSGPRsForWavesPerEU: 22
; NumVGPRsForWavesPerEU: 75
; Occupancy: 16
; WaveLimiterHint : 1
; COMPUTE_PGM_RSRC2:SCRATCH_EN: 0
; COMPUTE_PGM_RSRC2:USER_SGPR: 2
; COMPUTE_PGM_RSRC2:TRAP_HANDLER: 0
; COMPUTE_PGM_RSRC2:TGID_X_EN: 1
; COMPUTE_PGM_RSRC2:TGID_Y_EN: 0
; COMPUTE_PGM_RSRC2:TGID_Z_EN: 0
; COMPUTE_PGM_RSRC2:TIDIG_COMP_CNT: 0
	.text
	.p2alignl 7, 3214868480
	.fill 96, 4, 3214868480
	.type	__hip_cuid_413edbb2aea14979,@object ; @__hip_cuid_413edbb2aea14979
	.section	.bss,"aw",@nobits
	.globl	__hip_cuid_413edbb2aea14979
__hip_cuid_413edbb2aea14979:
	.byte	0                               ; 0x0
	.size	__hip_cuid_413edbb2aea14979, 1

	.ident	"AMD clang version 19.0.0git (https://github.com/RadeonOpenCompute/llvm-project roc-6.4.0 25133 c7fe45cf4b819c5991fe208aaa96edf142730f1d)"
	.section	".note.GNU-stack","",@progbits
	.addrsig
	.addrsig_sym __hip_cuid_413edbb2aea14979
	.amdgpu_metadata
---
amdhsa.kernels:
  - .args:
      - .actual_access:  read_only
        .address_space:  global
        .offset:         0
        .size:           8
        .value_kind:     global_buffer
      - .actual_access:  read_only
        .address_space:  global
        .offset:         8
        .size:           8
        .value_kind:     global_buffer
      - .actual_access:  read_only
        .address_space:  global
        .offset:         16
        .size:           8
        .value_kind:     global_buffer
      - .actual_access:  read_only
        .address_space:  global
        .offset:         24
        .size:           8
        .value_kind:     global_buffer
      - .actual_access:  read_only
        .address_space:  global
        .offset:         32
        .size:           8
        .value_kind:     global_buffer
      - .offset:         40
        .size:           8
        .value_kind:     by_value
      - .address_space:  global
        .offset:         48
        .size:           8
        .value_kind:     global_buffer
      - .address_space:  global
        .offset:         56
        .size:           8
        .value_kind:     global_buffer
      - .address_space:  global
        .offset:         64
        .size:           8
        .value_kind:     global_buffer
      - .address_space:  global
        .offset:         72
        .size:           8
        .value_kind:     global_buffer
      - .offset:         80
        .size:           4
        .value_kind:     by_value
      - .address_space:  global
        .offset:         88
        .size:           8
        .value_kind:     global_buffer
      - .address_space:  global
        .offset:         96
        .size:           8
        .value_kind:     global_buffer
    .group_segment_fixed_size: 11664
    .kernarg_segment_align: 8
    .kernarg_segment_size: 104
    .language:       OpenCL C
    .language_version:
      - 2
      - 0
    .max_flat_workgroup_size: 243
    .name:           bluestein_single_fwd_len162_dim1_sp_op_CI_CI
    .private_segment_fixed_size: 0
    .sgpr_count:     22
    .sgpr_spill_count: 0
    .symbol:         bluestein_single_fwd_len162_dim1_sp_op_CI_CI.kd
    .uniform_work_group_size: 1
    .uses_dynamic_stack: false
    .vgpr_count:     75
    .vgpr_spill_count: 0
    .wavefront_size: 32
    .workgroup_processor_mode: 1
amdhsa.target:   amdgcn-amd-amdhsa--gfx1201
amdhsa.version:
  - 1
  - 2
...

	.end_amdgpu_metadata
